;; amdgpu-corpus repo=ROCm/rocFFT kind=compiled arch=gfx1030 opt=O3
	.text
	.amdgcn_target "amdgcn-amd-amdhsa--gfx1030"
	.amdhsa_code_object_version 6
	.protected	fft_rtc_back_len50_factors_10_5_wgs_250_tpt_10_halfLds_sp_ip_CI_sbrr_dirReg ; -- Begin function fft_rtc_back_len50_factors_10_5_wgs_250_tpt_10_halfLds_sp_ip_CI_sbrr_dirReg
	.globl	fft_rtc_back_len50_factors_10_5_wgs_250_tpt_10_halfLds_sp_ip_CI_sbrr_dirReg
	.p2align	8
	.type	fft_rtc_back_len50_factors_10_5_wgs_250_tpt_10_halfLds_sp_ip_CI_sbrr_dirReg,@function
fft_rtc_back_len50_factors_10_5_wgs_250_tpt_10_halfLds_sp_ip_CI_sbrr_dirReg: ; @fft_rtc_back_len50_factors_10_5_wgs_250_tpt_10_halfLds_sp_ip_CI_sbrr_dirReg
; %bb.0:
	s_clause 0x1
	s_load_dwordx2 s[14:15], s[4:5], 0x18
	s_load_dwordx4 s[8:11], s[4:5], 0x0
	v_mul_u32_u24_e32 v1, 0x199a, v0
	v_mov_b32_e32 v5, 0
	s_load_dwordx2 s[2:3], s[4:5], 0x50
	s_waitcnt lgkmcnt(0)
	s_load_dwordx2 s[12:13], s[14:15], 0x0
	v_lshrrev_b32_e32 v1, 16, v1
	v_cmp_lt_u64_e64 s0, s[10:11], 2
	v_mad_u64_u32 v[3:4], null, s6, 25, v[1:2]
	v_mov_b32_e32 v4, v5
	v_mov_b32_e32 v1, 0
	;; [unrolled: 1-line block ×3, first 2 shown]
	s_and_b32 vcc_lo, exec_lo, s0
	v_mov_b32_e32 v10, v4
	v_mov_b32_e32 v9, v3
	s_cbranch_vccnz .LBB0_8
; %bb.1:
	s_load_dwordx2 s[0:1], s[4:5], 0x10
	v_mov_b32_e32 v1, 0
	v_mov_b32_e32 v8, v4
	s_add_u32 s6, s14, 8
	v_mov_b32_e32 v2, 0
	v_mov_b32_e32 v7, v3
	s_addc_u32 s7, s15, 0
	s_mov_b64 s[18:19], 1
	s_waitcnt lgkmcnt(0)
	s_add_u32 s16, s0, 8
	s_addc_u32 s17, s1, 0
.LBB0_2:                                ; =>This Inner Loop Header: Depth=1
	s_load_dwordx2 s[20:21], s[16:17], 0x0
                                        ; implicit-def: $vgpr9_vgpr10
	s_mov_b32 s0, exec_lo
	s_waitcnt lgkmcnt(0)
	v_or_b32_e32 v6, s21, v8
	v_cmpx_ne_u64_e32 0, v[5:6]
	s_xor_b32 s1, exec_lo, s0
	s_cbranch_execz .LBB0_4
; %bb.3:                                ;   in Loop: Header=BB0_2 Depth=1
	v_cvt_f32_u32_e32 v4, s20
	v_cvt_f32_u32_e32 v6, s21
	s_sub_u32 s0, 0, s20
	s_subb_u32 s22, 0, s21
	v_fmac_f32_e32 v4, 0x4f800000, v6
	v_rcp_f32_e32 v4, v4
	v_mul_f32_e32 v4, 0x5f7ffffc, v4
	v_mul_f32_e32 v6, 0x2f800000, v4
	v_trunc_f32_e32 v6, v6
	v_fmac_f32_e32 v4, 0xcf800000, v6
	v_cvt_u32_f32_e32 v6, v6
	v_cvt_u32_f32_e32 v4, v4
	v_mul_lo_u32 v9, s0, v6
	v_mul_hi_u32 v10, s0, v4
	v_mul_lo_u32 v11, s22, v4
	v_add_nc_u32_e32 v9, v10, v9
	v_mul_lo_u32 v10, s0, v4
	v_add_nc_u32_e32 v9, v9, v11
	v_mul_hi_u32 v11, v4, v10
	v_mul_lo_u32 v12, v4, v9
	v_mul_hi_u32 v13, v4, v9
	v_mul_hi_u32 v14, v6, v10
	v_mul_lo_u32 v10, v6, v10
	v_mul_hi_u32 v15, v6, v9
	v_mul_lo_u32 v9, v6, v9
	v_add_co_u32 v11, vcc_lo, v11, v12
	v_add_co_ci_u32_e32 v12, vcc_lo, 0, v13, vcc_lo
	v_add_co_u32 v10, vcc_lo, v11, v10
	v_add_co_ci_u32_e32 v10, vcc_lo, v12, v14, vcc_lo
	v_add_co_ci_u32_e32 v11, vcc_lo, 0, v15, vcc_lo
	v_add_co_u32 v9, vcc_lo, v10, v9
	v_add_co_ci_u32_e32 v10, vcc_lo, 0, v11, vcc_lo
	v_add_co_u32 v4, vcc_lo, v4, v9
	v_add_co_ci_u32_e32 v6, vcc_lo, v6, v10, vcc_lo
	v_mul_hi_u32 v9, s0, v4
	v_mul_lo_u32 v11, s22, v4
	v_mul_lo_u32 v10, s0, v6
	v_add_nc_u32_e32 v9, v9, v10
	v_mul_lo_u32 v10, s0, v4
	v_add_nc_u32_e32 v9, v9, v11
	v_mul_hi_u32 v11, v4, v10
	v_mul_lo_u32 v12, v4, v9
	v_mul_hi_u32 v13, v4, v9
	v_mul_hi_u32 v14, v6, v10
	v_mul_lo_u32 v10, v6, v10
	v_mul_hi_u32 v15, v6, v9
	v_mul_lo_u32 v9, v6, v9
	v_add_co_u32 v11, vcc_lo, v11, v12
	v_add_co_ci_u32_e32 v12, vcc_lo, 0, v13, vcc_lo
	v_add_co_u32 v10, vcc_lo, v11, v10
	v_add_co_ci_u32_e32 v10, vcc_lo, v12, v14, vcc_lo
	v_add_co_ci_u32_e32 v11, vcc_lo, 0, v15, vcc_lo
	v_add_co_u32 v9, vcc_lo, v10, v9
	v_add_co_ci_u32_e32 v10, vcc_lo, 0, v11, vcc_lo
	v_add_co_u32 v4, vcc_lo, v4, v9
	v_add_co_ci_u32_e32 v6, vcc_lo, v6, v10, vcc_lo
	v_mul_hi_u32 v15, v7, v4
	v_mad_u64_u32 v[11:12], null, v8, v4, 0
	v_mad_u64_u32 v[9:10], null, v7, v6, 0
	v_mad_u64_u32 v[13:14], null, v8, v6, 0
	v_add_co_u32 v4, vcc_lo, v15, v9
	v_add_co_ci_u32_e32 v6, vcc_lo, 0, v10, vcc_lo
	v_add_co_u32 v4, vcc_lo, v4, v11
	v_add_co_ci_u32_e32 v4, vcc_lo, v6, v12, vcc_lo
	v_add_co_ci_u32_e32 v6, vcc_lo, 0, v14, vcc_lo
	v_add_co_u32 v4, vcc_lo, v4, v13
	v_add_co_ci_u32_e32 v6, vcc_lo, 0, v6, vcc_lo
	v_mul_lo_u32 v11, s21, v4
	v_mad_u64_u32 v[9:10], null, s20, v4, 0
	v_mul_lo_u32 v12, s20, v6
	v_sub_co_u32 v9, vcc_lo, v7, v9
	v_add3_u32 v10, v10, v12, v11
	v_sub_nc_u32_e32 v11, v8, v10
	v_subrev_co_ci_u32_e64 v11, s0, s21, v11, vcc_lo
	v_add_co_u32 v12, s0, v4, 2
	v_add_co_ci_u32_e64 v13, s0, 0, v6, s0
	v_sub_co_u32 v14, s0, v9, s20
	v_sub_co_ci_u32_e32 v10, vcc_lo, v8, v10, vcc_lo
	v_subrev_co_ci_u32_e64 v11, s0, 0, v11, s0
	v_cmp_le_u32_e32 vcc_lo, s20, v14
	v_cmp_eq_u32_e64 s0, s21, v10
	v_cndmask_b32_e64 v14, 0, -1, vcc_lo
	v_cmp_le_u32_e32 vcc_lo, s21, v11
	v_cndmask_b32_e64 v15, 0, -1, vcc_lo
	v_cmp_le_u32_e32 vcc_lo, s20, v9
	;; [unrolled: 2-line block ×3, first 2 shown]
	v_cndmask_b32_e64 v16, 0, -1, vcc_lo
	v_cmp_eq_u32_e32 vcc_lo, s21, v11
	v_cndmask_b32_e64 v9, v16, v9, s0
	v_cndmask_b32_e32 v11, v15, v14, vcc_lo
	v_add_co_u32 v14, vcc_lo, v4, 1
	v_add_co_ci_u32_e32 v15, vcc_lo, 0, v6, vcc_lo
	v_cmp_ne_u32_e32 vcc_lo, 0, v11
	v_cndmask_b32_e32 v10, v15, v13, vcc_lo
	v_cndmask_b32_e32 v11, v14, v12, vcc_lo
	v_cmp_ne_u32_e32 vcc_lo, 0, v9
	v_cndmask_b32_e32 v10, v6, v10, vcc_lo
	v_cndmask_b32_e32 v9, v4, v11, vcc_lo
.LBB0_4:                                ;   in Loop: Header=BB0_2 Depth=1
	s_andn2_saveexec_b32 s0, s1
	s_cbranch_execz .LBB0_6
; %bb.5:                                ;   in Loop: Header=BB0_2 Depth=1
	v_cvt_f32_u32_e32 v4, s20
	s_sub_i32 s1, 0, s20
	v_rcp_iflag_f32_e32 v4, v4
	v_mul_f32_e32 v4, 0x4f7ffffe, v4
	v_cvt_u32_f32_e32 v4, v4
	v_mul_lo_u32 v6, s1, v4
	v_mul_hi_u32 v6, v4, v6
	v_add_nc_u32_e32 v4, v4, v6
	v_mul_hi_u32 v4, v7, v4
	v_mul_lo_u32 v6, v4, s20
	v_add_nc_u32_e32 v9, 1, v4
	v_sub_nc_u32_e32 v6, v7, v6
	v_subrev_nc_u32_e32 v10, s20, v6
	v_cmp_le_u32_e32 vcc_lo, s20, v6
	v_cndmask_b32_e32 v6, v6, v10, vcc_lo
	v_cndmask_b32_e32 v4, v4, v9, vcc_lo
	v_mov_b32_e32 v10, v5
	v_cmp_le_u32_e32 vcc_lo, s20, v6
	v_add_nc_u32_e32 v9, 1, v4
	v_cndmask_b32_e32 v9, v4, v9, vcc_lo
.LBB0_6:                                ;   in Loop: Header=BB0_2 Depth=1
	s_or_b32 exec_lo, exec_lo, s0
	s_load_dwordx2 s[0:1], s[6:7], 0x0
	v_mul_lo_u32 v4, v10, s20
	v_mul_lo_u32 v6, v9, s21
	v_mad_u64_u32 v[11:12], null, v9, s20, 0
	s_add_u32 s18, s18, 1
	s_addc_u32 s19, s19, 0
	s_add_u32 s6, s6, 8
	s_addc_u32 s7, s7, 0
	s_add_u32 s16, s16, 8
	s_addc_u32 s17, s17, 0
	v_add3_u32 v4, v12, v6, v4
	v_sub_co_u32 v6, vcc_lo, v7, v11
	v_sub_co_ci_u32_e32 v4, vcc_lo, v8, v4, vcc_lo
	s_waitcnt lgkmcnt(0)
	v_mul_lo_u32 v7, s1, v6
	v_mul_lo_u32 v4, s0, v4
	v_mad_u64_u32 v[1:2], null, s0, v6, v[1:2]
	v_cmp_ge_u64_e64 s0, s[18:19], s[10:11]
	s_and_b32 vcc_lo, exec_lo, s0
	v_add3_u32 v2, v7, v2, v4
	s_cbranch_vccnz .LBB0_8
; %bb.7:                                ;   in Loop: Header=BB0_2 Depth=1
	v_mov_b32_e32 v7, v9
	v_mov_b32_e32 v8, v10
	s_branch .LBB0_2
.LBB0_8:
	s_lshl_b64 s[0:1], s[10:11], 3
	v_mul_hi_u32 v4, 0x1999999a, v0
	s_add_u32 s0, s14, s0
	s_addc_u32 s1, s15, s1
	v_mov_b32_e32 v26, 0
	s_load_dwordx2 s[0:1], s[0:1], 0x0
	s_load_dwordx2 s[4:5], s[4:5], 0x20
                                        ; implicit-def: $vgpr13
                                        ; implicit-def: $vgpr23
                                        ; implicit-def: $vgpr15
                                        ; implicit-def: $vgpr21
                                        ; implicit-def: $vgpr17
                                        ; implicit-def: $vgpr19
                                        ; implicit-def: $vgpr11
                                        ; implicit-def: $vgpr7
	v_mul_u32_u24_e32 v4, 10, v4
	v_sub_nc_u32_e32 v0, v0, v4
	s_waitcnt lgkmcnt(0)
	v_mul_lo_u32 v5, s0, v10
	v_mul_lo_u32 v6, s1, v9
	v_mad_u64_u32 v[1:2], null, s0, v9, v[1:2]
	v_cmp_gt_u64_e32 vcc_lo, s[4:5], v[9:10]
                                        ; implicit-def: $vgpr9
	v_add3_u32 v2, v6, v2, v5
                                        ; implicit-def: $vgpr5
	s_and_saveexec_b32 s1, vcc_lo
	s_cbranch_execz .LBB0_12
; %bb.9:
	s_mov_b32 s4, exec_lo
                                        ; implicit-def: $vgpr4
                                        ; implicit-def: $vgpr6
                                        ; implicit-def: $vgpr10
                                        ; implicit-def: $vgpr8
                                        ; implicit-def: $vgpr18
                                        ; implicit-def: $vgpr16
                                        ; implicit-def: $vgpr20
                                        ; implicit-def: $vgpr14
                                        ; implicit-def: $vgpr22
                                        ; implicit-def: $vgpr12
	v_cmpx_gt_u32_e32 5, v0
	s_cbranch_execz .LBB0_11
; %bb.10:
	v_add_nc_u32_e32 v14, 5, v0
	v_mad_u64_u32 v[4:5], null, s12, v0, 0
	v_lshlrev_b64 v[8:9], 3, v[1:2]
	v_add_nc_u32_e32 v16, 10, v0
	v_mad_u64_u32 v[6:7], null, s12, v14, 0
	v_add_nc_u32_e32 v17, 15, v0
	v_add_nc_u32_e32 v18, 20, v0
	v_mad_u64_u32 v[10:11], null, s12, v16, 0
	v_add_co_u32 v28, s0, s2, v8
	v_mad_u64_u32 v[12:13], null, s13, v0, v[5:6]
	v_mad_u64_u32 v[13:14], null, s13, v14, v[7:8]
	;; [unrolled: 1-line block ×3, first 2 shown]
	v_add_co_ci_u32_e64 v29, s0, s3, v9, s0
	v_mov_b32_e32 v8, v11
	v_mov_b32_e32 v5, v12
	;; [unrolled: 1-line block ×3, first 2 shown]
	v_add_nc_u32_e32 v23, 30, v0
	v_mov_b32_e32 v9, v15
	v_add_nc_u32_e32 v24, 35, v0
	v_lshlrev_b64 v[4:5], 3, v[4:5]
	v_lshlrev_b64 v[6:7], 3, v[6:7]
	v_add_nc_u32_e32 v27, 45, v0
	v_mad_u64_u32 v[11:12], null, s13, v16, v[8:9]
	v_mad_u64_u32 v[8:9], null, s13, v17, v[9:10]
	;; [unrolled: 1-line block ×3, first 2 shown]
	v_add_co_u32 v4, s0, v28, v4
	v_lshlrev_b64 v[9:10], 3, v[10:11]
	v_add_nc_u32_e32 v11, 25, v0
	v_mov_b32_e32 v15, v8
	v_add_co_ci_u32_e64 v5, s0, v29, v5, s0
	v_mov_b32_e32 v8, v13
	v_add_co_u32 v6, s0, v28, v6
	v_lshlrev_b64 v[13:14], 3, v[14:15]
	v_add_co_ci_u32_e64 v7, s0, v29, v7, s0
	v_mad_u64_u32 v[15:16], null, s13, v18, v[8:9]
	v_mad_u64_u32 v[16:17], null, s12, v11, 0
	v_add_co_u32 v8, s0, v28, v9
	v_add_co_ci_u32_e64 v9, s0, v29, v10, s0
	v_add_co_u32 v18, s0, v28, v13
	v_mov_b32_e32 v10, v17
	v_add_co_ci_u32_e64 v19, s0, v29, v14, s0
	v_mov_b32_e32 v13, v15
	v_mad_u64_u32 v[14:15], null, s12, v23, 0
	v_mad_u64_u32 v[20:21], null, s13, v11, v[10:11]
	;; [unrolled: 1-line block ×3, first 2 shown]
	s_clause 0x3
	global_load_dwordx2 v[4:5], v[4:5], off
	global_load_dwordx2 v[6:7], v[6:7], off
	;; [unrolled: 1-line block ×4, first 2 shown]
	v_or_b32_e32 v25, 40, v0
	v_mad_u64_u32 v[18:19], null, s13, v23, v[15:16]
	v_mov_b32_e32 v17, v20
	v_lshlrev_b64 v[12:13], 3, v[12:13]
	v_mov_b32_e32 v15, v22
	v_mad_u64_u32 v[19:20], null, s12, v25, 0
	v_mad_u64_u32 v[22:23], null, s13, v24, v[15:16]
	;; [unrolled: 1-line block ×3, first 2 shown]
	v_mov_b32_e32 v15, v18
	v_mad_u64_u32 v[25:26], null, s13, v25, v[20:21]
	v_lshlrev_b64 v[16:17], 3, v[16:17]
	v_add_co_u32 v12, s0, v28, v12
	v_mov_b32_e32 v18, v24
	v_lshlrev_b64 v[14:15], 3, v[14:15]
	v_add_co_ci_u32_e64 v13, s0, v29, v13, s0
	v_mov_b32_e32 v20, v25
	v_mad_u64_u32 v[26:27], null, s13, v27, v[18:19]
	v_add_co_u32 v16, s0, v28, v16
	v_lshlrev_b64 v[21:22], 3, v[21:22]
	v_add_co_ci_u32_e64 v17, s0, v29, v17, s0
	v_add_co_u32 v14, s0, v28, v14
	v_mov_b32_e32 v24, v26
	v_lshlrev_b64 v[18:19], 3, v[19:20]
	v_add_co_ci_u32_e64 v15, s0, v29, v15, s0
	v_add_co_u32 v25, s0, v28, v21
	v_lshlrev_b64 v[20:21], 3, v[23:24]
	v_add_co_ci_u32_e64 v26, s0, v29, v22, s0
	v_add_co_u32 v22, s0, v28, v18
	v_add_co_ci_u32_e64 v23, s0, v29, v19, s0
	v_add_co_u32 v27, s0, v28, v20
	v_add_co_ci_u32_e64 v28, s0, v29, v21, s0
	s_clause 0x5
	global_load_dwordx2 v[18:19], v[12:13], off
	global_load_dwordx2 v[16:17], v[16:17], off
	;; [unrolled: 1-line block ×6, first 2 shown]
.LBB0_11:
	s_or_b32 exec_lo, exec_lo, s4
	v_mov_b32_e32 v26, v0
.LBB0_12:
	s_or_b32 exec_lo, exec_lo, s1
	v_mul_hi_u32 v24, 0x51eb851f, v3
	s_waitcnt vmcnt(2)
	v_add_f32_e32 v25, v14, v16
	s_waitcnt vmcnt(0)
	v_sub_f32_e32 v33, v9, v13
	v_add_f32_e32 v28, v12, v8
	v_sub_f32_e32 v32, v17, v15
	v_sub_f32_e32 v29, v8, v16
	v_fma_f32 v27, -0.5, v25, v6
	v_sub_f32_e32 v31, v12, v14
	v_lshrrev_b32_e32 v24, 3, v24
	v_sub_f32_e32 v34, v16, v8
	v_sub_f32_e32 v35, v14, v12
	v_add_f32_e32 v25, v15, v17
	v_fma_f32 v28, -0.5, v28, v6
	v_mul_lo_u32 v24, v24, 25
	v_fmamk_f32 v30, v33, 0xbf737871, v27
	v_fmac_f32_e32 v27, 0x3f737871, v33
	v_sub_f32_e32 v36, v8, v12
	v_add_f32_e32 v37, v31, v29
	v_add_f32_e32 v35, v35, v34
	v_fmamk_f32 v31, v32, 0x3f737871, v28
	v_fmac_f32_e32 v30, 0xbf167918, v32
	v_sub_nc_u32_e32 v3, v3, v24
	v_add_f32_e32 v24, v13, v9
	v_fma_f32 v29, -0.5, v25, v7
	v_fmac_f32_e32 v27, 0x3f167918, v32
	v_fmac_f32_e32 v28, 0xbf737871, v32
	v_sub_f32_e32 v25, v16, v14
	v_fma_f32 v34, -0.5, v24, v7
	v_fmac_f32_e32 v31, 0xbf167918, v33
	v_fmac_f32_e32 v30, 0x3e9e377a, v37
	v_fmamk_f32 v32, v36, 0x3f737871, v29
	v_fmac_f32_e32 v27, 0x3e9e377a, v37
	v_fmac_f32_e32 v28, 0x3f167918, v33
	v_sub_f32_e32 v24, v9, v17
	v_sub_f32_e32 v37, v13, v15
	v_fmac_f32_e32 v29, 0xbf737871, v36
	v_fmamk_f32 v33, v25, 0xbf737871, v34
	v_sub_f32_e32 v38, v17, v9
	v_sub_f32_e32 v39, v15, v13
	v_fmac_f32_e32 v34, 0x3f737871, v25
	v_mul_u32_u24_e32 v3, 50, v3
	v_fmac_f32_e32 v32, 0x3f167918, v25
	v_add_f32_e32 v24, v37, v24
	v_fmac_f32_e32 v29, 0xbf167918, v25
	v_fmac_f32_e32 v33, 0x3f167918, v36
	v_add_f32_e32 v25, v39, v38
	v_fmac_f32_e32 v34, 0xbf167918, v36
	v_fmac_f32_e32 v31, 0x3e9e377a, v35
	;; [unrolled: 1-line block ×7, first 2 shown]
	v_cmp_gt_u32_e64 s0, 5, v0
	v_lshlrev_b32_e32 v35, 2, v3
	s_and_saveexec_b32 s1, s0
	s_cbranch_execz .LBB0_14
; %bb.13:
	v_add_f32_e32 v37, v22, v10
	v_add_f32_e32 v3, v20, v18
	v_sub_f32_e32 v24, v10, v18
	v_sub_f32_e32 v25, v22, v20
	v_sub_f32_e32 v38, v19, v21
	v_sub_f32_e32 v40, v18, v10
	v_fma_f32 v41, -0.5, v37, v4
	v_sub_f32_e32 v37, v20, v22
	v_add_f32_e32 v6, v8, v6
	v_sub_f32_e32 v36, v11, v23
	v_fma_f32 v3, -0.5, v3, v4
	v_add_f32_e32 v24, v25, v24
	v_fmamk_f32 v44, v38, 0xbf737871, v41
	v_fmac_f32_e32 v41, 0x3f737871, v38
	v_add_f32_e32 v25, v37, v40
	v_add_f32_e32 v37, v10, v4
	;; [unrolled: 1-line block ×3, first 2 shown]
	v_fmamk_f32 v42, v36, 0x3f737871, v3
	v_fmac_f32_e32 v44, 0x3f167918, v36
	v_fmac_f32_e32 v41, 0xbf167918, v36
	;; [unrolled: 1-line block ×3, first 2 shown]
	v_add_f32_e32 v8, v18, v37
	v_add_f32_e32 v6, v14, v6
	v_mul_f32_e32 v43, 0xbf737871, v34
	v_fmac_f32_e32 v44, 0x3e9e377a, v25
	v_fmac_f32_e32 v41, 0x3e9e377a, v25
	v_mul_f32_e32 v16, 0xbf737871, v33
	v_fmac_f32_e32 v3, 0xbf167918, v38
	v_mul_f32_e32 v25, 0xbf167918, v32
	v_add_f32_e32 v8, v20, v8
	v_add_f32_e32 v6, v12, v6
	v_mul_u32_u24_e32 v12, 10, v0
	v_mul_f32_e32 v39, 0xbf167918, v29
	v_fmac_f32_e32 v42, 0x3f167918, v38
	v_fmac_f32_e32 v16, 0x3e9e377a, v31
	;; [unrolled: 1-line block ×3, first 2 shown]
	v_fmamk_f32 v14, v30, 0x3f4f1bbd, v25
	v_add_f32_e32 v8, v22, v8
	v_fmamk_f32 v43, v28, 0xbe9e377a, v43
	v_lshlrev_b32_e32 v12, 2, v12
	v_fmamk_f32 v45, v27, 0xbf4f1bbd, v39
	v_fmac_f32_e32 v42, 0x3e9e377a, v24
	v_sub_f32_e32 v25, v41, v16
	v_sub_f32_e32 v37, v8, v6
	v_add_f32_e32 v39, v44, v43
	v_add_f32_e32 v38, v41, v16
	;; [unrolled: 1-line block ×4, first 2 shown]
	v_add3_u32 v6, 0, v12, v35
	v_sub_f32_e32 v24, v3, v14
	v_add_f32_e32 v36, v42, v45
	v_sub_f32_e32 v4, v42, v45
	v_sub_f32_e32 v3, v44, v43
	ds_write2_b64 v6, v[40:41], v[38:39] offset1:1
	ds_write2_b64 v6, v[36:37], v[24:25] offset0:2 offset1:3
	ds_write_b64 v6, v[3:4] offset:32
.LBB0_14:
	s_or_b32 exec_lo, exec_lo, s1
	v_lshlrev_b32_e32 v6, 2, v0
	s_waitcnt lgkmcnt(0)
	s_barrier
	buffer_gl0_inv
	v_add_nc_u32_e32 v16, 0, v6
	v_add3_u32 v12, 0, v35, v6
	v_add_nc_u32_e32 v14, v16, v35
	ds_read_b32 v8, v12
	ds_read2_b32 v[3:4], v14 offset0:10 offset1:20
	ds_read2_b32 v[24:25], v14 offset0:30 offset1:40
	s_waitcnt lgkmcnt(0)
	s_barrier
	buffer_gl0_inv
	s_and_saveexec_b32 s1, s0
	s_cbranch_execz .LBB0_16
; %bb.15:
	v_add_f32_e32 v37, v21, v19
	v_add_f32_e32 v38, v23, v11
	;; [unrolled: 1-line block ×3, first 2 shown]
	v_sub_f32_e32 v18, v18, v20
	v_sub_f32_e32 v10, v10, v22
	v_fma_f32 v37, -0.5, v37, v5
	v_fmac_f32_e32 v5, -0.5, v38
	v_sub_f32_e32 v22, v11, v19
	v_add_f32_e32 v36, v19, v36
	v_sub_f32_e32 v11, v19, v11
	v_sub_f32_e32 v19, v21, v23
	v_fmamk_f32 v38, v18, 0xbf737871, v5
	v_add_f32_e32 v7, v9, v7
	v_fmac_f32_e32 v5, 0x3f737871, v18
	v_sub_f32_e32 v39, v23, v21
	v_add_f32_e32 v20, v21, v36
	v_fmamk_f32 v36, v10, 0x3f737871, v37
	v_fmac_f32_e32 v38, 0x3f167918, v10
	v_add_f32_e32 v9, v19, v11
	v_add_f32_e32 v7, v17, v7
	v_fmac_f32_e32 v5, 0xbf167918, v10
	v_fmac_f32_e32 v37, 0xbf737871, v10
	v_add_f32_e32 v22, v39, v22
	v_fmac_f32_e32 v36, 0x3f167918, v18
	v_fmac_f32_e32 v38, 0x3e9e377a, v9
	v_add_f32_e32 v7, v15, v7
	v_fmac_f32_e32 v5, 0x3e9e377a, v9
	v_mul_f32_e32 v11, 0x3f167918, v30
	v_mul_f32_e32 v15, 0x3f737871, v31
	;; [unrolled: 1-line block ×3, first 2 shown]
	v_fmac_f32_e32 v37, 0xbf167918, v18
	v_mul_f32_e32 v10, 0x3f4f1bbd, v29
	v_add_f32_e32 v20, v23, v20
	v_fmac_f32_e32 v36, 0x3e9e377a, v22
	v_add_f32_e32 v7, v13, v7
	v_fmac_f32_e32 v11, 0x3f4f1bbd, v32
	v_fmac_f32_e32 v15, 0x3e9e377a, v33
	v_fma_f32 v13, 0x3f737871, v28, -v9
	v_mul_u32_u24_e32 v0, 36, v0
	v_fmac_f32_e32 v37, 0x3e9e377a, v22
	v_fma_f32 v23, 0x3f167918, v27, -v10
	v_add_f32_e32 v9, v7, v20
	v_add_f32_e32 v10, v36, v11
	;; [unrolled: 1-line block ×4, first 2 shown]
	v_add3_u32 v0, v16, v0, v35
	v_add_f32_e32 v19, v37, v23
	v_sub_f32_e32 v20, v20, v7
	v_sub_f32_e32 v21, v36, v11
	;; [unrolled: 1-line block ×5, first 2 shown]
	ds_write2_b64 v0, v[9:10], v[17:18] offset1:1
	ds_write2_b64 v0, v[19:20], v[21:22] offset0:2 offset1:3
	ds_write_b64 v0, v[15:16] offset:32
.LBB0_16:
	s_or_b32 exec_lo, exec_lo, s1
	s_waitcnt lgkmcnt(0)
	s_barrier
	buffer_gl0_inv
	s_and_saveexec_b32 s0, vcc_lo
	s_cbranch_execz .LBB0_18
; %bb.17:
	v_mov_b32_e32 v7, 0
	v_add_nc_u32_e32 v23, 10, v26
	v_add_nc_u32_e32 v36, 20, v26
	;; [unrolled: 1-line block ×4, first 2 shown]
	v_lshlrev_b64 v[5:6], 3, v[6:7]
	v_mad_u64_u32 v[27:28], null, s12, v23, 0
	v_lshlrev_b64 v[1:2], 3, v[1:2]
	v_mad_u64_u32 v[29:30], null, s12, v36, 0
	v_add_co_u32 v5, vcc_lo, s8, v5
	v_add_co_ci_u32_e32 v6, vcc_lo, s9, v6, vcc_lo
	v_mad_u64_u32 v[31:32], null, s12, v37, 0
	v_mad_u64_u32 v[33:34], null, s12, v38, 0
	s_clause 0x1
	global_load_dwordx4 v[15:18], v[5:6], off
	global_load_dwordx4 v[19:22], v[5:6], off offset:16
	ds_read2_b32 v[5:6], v14 offset0:10 offset1:20
	ds_read2_b32 v[9:10], v14 offset0:30 offset1:40
	v_mad_u64_u32 v[13:14], null, s12, v26, 0
	ds_read_b32 v39, v12
	v_mov_b32_e32 v7, v30
	v_mov_b32_e32 v0, v14
	;; [unrolled: 1-line block ×3, first 2 shown]
	v_mad_u64_u32 v[11:12], null, s13, v26, v[0:1]
	v_mov_b32_e32 v0, v28
	v_mov_b32_e32 v12, v32
	v_mad_u64_u32 v[34:35], null, s13, v23, v[0:1]
	v_mad_u64_u32 v[35:36], null, s13, v36, v[7:8]
	;; [unrolled: 1-line block ×3, first 2 shown]
	v_add_co_u32 v7, vcc_lo, s2, v1
	v_mov_b32_e32 v28, v34
	v_add_co_ci_u32_e32 v2, vcc_lo, s3, v2, vcc_lo
	v_mov_b32_e32 v30, v35
	v_mov_b32_e32 v32, v36
	s_waitcnt vmcnt(1)
	v_mad_u64_u32 v[37:38], null, s13, v38, v[14:15]
	v_mov_b32_e32 v14, v11
	v_lshlrev_b64 v[11:12], 3, v[27:28]
	v_lshlrev_b64 v[26:27], 3, v[31:32]
	s_waitcnt vmcnt(0)
	v_mul_f32_e32 v23, v24, v20
	s_waitcnt lgkmcnt(1)
	v_mul_f32_e32 v20, v9, v20
	v_lshlrev_b64 v[0:1], 3, v[13:14]
	v_lshlrev_b64 v[13:14], 3, v[29:30]
	v_mov_b32_e32 v34, v37
	v_mul_f32_e32 v30, v25, v22
	v_mul_f32_e32 v22, v10, v22
	v_fmac_f32_e32 v20, v24, v19
	v_add_co_u32 v0, vcc_lo, v7, v0
	v_add_co_ci_u32_e32 v1, vcc_lo, v2, v1, vcc_lo
	v_add_co_u32 v11, vcc_lo, v7, v11
	v_add_co_ci_u32_e32 v12, vcc_lo, v2, v12, vcc_lo
	v_lshlrev_b64 v[28:29], 3, v[33:34]
	v_add_co_u32 v13, vcc_lo, v7, v13
	v_add_co_ci_u32_e32 v14, vcc_lo, v2, v14, vcc_lo
	v_add_co_u32 v26, vcc_lo, v7, v26
	v_add_co_ci_u32_e32 v27, vcc_lo, v2, v27, vcc_lo
	;; [unrolled: 2-line block ×3, first 2 shown]
	v_mul_f32_e32 v2, v4, v18
	v_mul_f32_e32 v7, v3, v16
	;; [unrolled: 1-line block ×4, first 2 shown]
	v_fma_f32 v10, v10, v21, -v30
	v_fma_f32 v2, v6, v17, -v2
	v_fma_f32 v5, v5, v15, -v7
	v_fma_f32 v6, v9, v19, -v23
	v_fmac_f32_e32 v18, v4, v17
	v_fmac_f32_e32 v16, v3, v15
	;; [unrolled: 1-line block ×3, first 2 shown]
	v_sub_f32_e32 v3, v2, v5
	v_sub_f32_e32 v4, v6, v10
	v_add_f32_e32 v21, v2, v6
	v_add_f32_e32 v35, v18, v20
	v_add_f32_e32 v7, v5, v10
	s_waitcnt lgkmcnt(0)
	v_add_f32_e32 v23, v5, v39
	v_add_f32_e32 v31, v16, v22
	v_sub_f32_e32 v17, v16, v22
	v_sub_f32_e32 v24, v18, v16
	;; [unrolled: 1-line block ×3, first 2 shown]
	v_add_f32_e32 v16, v8, v16
	v_sub_f32_e32 v9, v5, v2
	v_sub_f32_e32 v19, v10, v6
	;; [unrolled: 1-line block ×3, first 2 shown]
	v_add_f32_e32 v36, v3, v4
	v_fma_f32 v5, -0.5, v21, v39
	v_fma_f32 v4, -0.5, v35, v8
	v_sub_f32_e32 v15, v18, v20
	v_sub_f32_e32 v32, v2, v6
	v_fma_f32 v3, -0.5, v7, v39
	v_add_f32_e32 v21, v2, v23
	v_fma_f32 v2, -0.5, v31, v8
	v_add_f32_e32 v16, v18, v16
	v_sub_f32_e32 v25, v20, v22
	v_sub_f32_e32 v34, v22, v20
	v_add_f32_e32 v19, v9, v19
	v_fmamk_f32 v9, v17, 0xbf737871, v5
	v_fmac_f32_e32 v5, 0x3f737871, v17
	v_fmamk_f32 v8, v30, 0x3f737871, v4
	v_fmac_f32_e32 v4, 0xbf737871, v30
	;; [unrolled: 2-line block ×3, first 2 shown]
	v_add_f32_e32 v18, v6, v21
	v_fmamk_f32 v6, v32, 0xbf737871, v2
	v_fmac_f32_e32 v2, 0x3f737871, v32
	v_add_f32_e32 v20, v16, v20
	v_add_f32_e32 v23, v24, v25
	v_add_f32_e32 v24, v33, v34
	v_fmac_f32_e32 v5, 0x3f167918, v15
	v_fmac_f32_e32 v4, 0xbf167918, v32
	;; [unrolled: 1-line block ×8, first 2 shown]
	v_add_f32_e32 v16, v10, v18
	v_add_f32_e32 v15, v20, v22
	v_fmac_f32_e32 v5, 0x3e9e377a, v19
	v_fmac_f32_e32 v4, 0x3e9e377a, v24
	;; [unrolled: 1-line block ×8, first 2 shown]
	global_store_dwordx2 v[0:1], v[15:16], off
	global_store_dwordx2 v[11:12], v[4:5], off
	;; [unrolled: 1-line block ×5, first 2 shown]
.LBB0_18:
	s_endpgm
	.section	.rodata,"a",@progbits
	.p2align	6, 0x0
	.amdhsa_kernel fft_rtc_back_len50_factors_10_5_wgs_250_tpt_10_halfLds_sp_ip_CI_sbrr_dirReg
		.amdhsa_group_segment_fixed_size 0
		.amdhsa_private_segment_fixed_size 0
		.amdhsa_kernarg_size 88
		.amdhsa_user_sgpr_count 6
		.amdhsa_user_sgpr_private_segment_buffer 1
		.amdhsa_user_sgpr_dispatch_ptr 0
		.amdhsa_user_sgpr_queue_ptr 0
		.amdhsa_user_sgpr_kernarg_segment_ptr 1
		.amdhsa_user_sgpr_dispatch_id 0
		.amdhsa_user_sgpr_flat_scratch_init 0
		.amdhsa_user_sgpr_private_segment_size 0
		.amdhsa_wavefront_size32 1
		.amdhsa_uses_dynamic_stack 0
		.amdhsa_system_sgpr_private_segment_wavefront_offset 0
		.amdhsa_system_sgpr_workgroup_id_x 1
		.amdhsa_system_sgpr_workgroup_id_y 0
		.amdhsa_system_sgpr_workgroup_id_z 0
		.amdhsa_system_sgpr_workgroup_info 0
		.amdhsa_system_vgpr_workitem_id 0
		.amdhsa_next_free_vgpr 46
		.amdhsa_next_free_sgpr 23
		.amdhsa_reserve_vcc 1
		.amdhsa_reserve_flat_scratch 0
		.amdhsa_float_round_mode_32 0
		.amdhsa_float_round_mode_16_64 0
		.amdhsa_float_denorm_mode_32 3
		.amdhsa_float_denorm_mode_16_64 3
		.amdhsa_dx10_clamp 1
		.amdhsa_ieee_mode 1
		.amdhsa_fp16_overflow 0
		.amdhsa_workgroup_processor_mode 1
		.amdhsa_memory_ordered 1
		.amdhsa_forward_progress 0
		.amdhsa_shared_vgpr_count 0
		.amdhsa_exception_fp_ieee_invalid_op 0
		.amdhsa_exception_fp_denorm_src 0
		.amdhsa_exception_fp_ieee_div_zero 0
		.amdhsa_exception_fp_ieee_overflow 0
		.amdhsa_exception_fp_ieee_underflow 0
		.amdhsa_exception_fp_ieee_inexact 0
		.amdhsa_exception_int_div_zero 0
	.end_amdhsa_kernel
	.text
.Lfunc_end0:
	.size	fft_rtc_back_len50_factors_10_5_wgs_250_tpt_10_halfLds_sp_ip_CI_sbrr_dirReg, .Lfunc_end0-fft_rtc_back_len50_factors_10_5_wgs_250_tpt_10_halfLds_sp_ip_CI_sbrr_dirReg
                                        ; -- End function
	.section	.AMDGPU.csdata,"",@progbits
; Kernel info:
; codeLenInByte = 3724
; NumSgprs: 25
; NumVgprs: 46
; ScratchSize: 0
; MemoryBound: 0
; FloatMode: 240
; IeeeMode: 1
; LDSByteSize: 0 bytes/workgroup (compile time only)
; SGPRBlocks: 3
; VGPRBlocks: 5
; NumSGPRsForWavesPerEU: 25
; NumVGPRsForWavesPerEU: 46
; Occupancy: 16
; WaveLimiterHint : 1
; COMPUTE_PGM_RSRC2:SCRATCH_EN: 0
; COMPUTE_PGM_RSRC2:USER_SGPR: 6
; COMPUTE_PGM_RSRC2:TRAP_HANDLER: 0
; COMPUTE_PGM_RSRC2:TGID_X_EN: 1
; COMPUTE_PGM_RSRC2:TGID_Y_EN: 0
; COMPUTE_PGM_RSRC2:TGID_Z_EN: 0
; COMPUTE_PGM_RSRC2:TIDIG_COMP_CNT: 0
	.text
	.p2alignl 6, 3214868480
	.fill 48, 4, 3214868480
	.type	__hip_cuid_8bc8115ed90e71cd,@object ; @__hip_cuid_8bc8115ed90e71cd
	.section	.bss,"aw",@nobits
	.globl	__hip_cuid_8bc8115ed90e71cd
__hip_cuid_8bc8115ed90e71cd:
	.byte	0                               ; 0x0
	.size	__hip_cuid_8bc8115ed90e71cd, 1

	.ident	"AMD clang version 19.0.0git (https://github.com/RadeonOpenCompute/llvm-project roc-6.4.0 25133 c7fe45cf4b819c5991fe208aaa96edf142730f1d)"
	.section	".note.GNU-stack","",@progbits
	.addrsig
	.addrsig_sym __hip_cuid_8bc8115ed90e71cd
	.amdgpu_metadata
---
amdhsa.kernels:
  - .args:
      - .actual_access:  read_only
        .address_space:  global
        .offset:         0
        .size:           8
        .value_kind:     global_buffer
      - .offset:         8
        .size:           8
        .value_kind:     by_value
      - .actual_access:  read_only
        .address_space:  global
        .offset:         16
        .size:           8
        .value_kind:     global_buffer
      - .actual_access:  read_only
        .address_space:  global
        .offset:         24
        .size:           8
        .value_kind:     global_buffer
      - .offset:         32
        .size:           8
        .value_kind:     by_value
      - .actual_access:  read_only
        .address_space:  global
        .offset:         40
        .size:           8
        .value_kind:     global_buffer
      - .actual_access:  read_only
        .address_space:  global
        .offset:         48
        .size:           8
        .value_kind:     global_buffer
      - .offset:         56
        .size:           4
        .value_kind:     by_value
      - .actual_access:  read_only
        .address_space:  global
        .offset:         64
        .size:           8
        .value_kind:     global_buffer
      - .actual_access:  read_only
        .address_space:  global
        .offset:         72
        .size:           8
        .value_kind:     global_buffer
      - .address_space:  global
        .offset:         80
        .size:           8
        .value_kind:     global_buffer
    .group_segment_fixed_size: 0
    .kernarg_segment_align: 8
    .kernarg_segment_size: 88
    .language:       OpenCL C
    .language_version:
      - 2
      - 0
    .max_flat_workgroup_size: 250
    .name:           fft_rtc_back_len50_factors_10_5_wgs_250_tpt_10_halfLds_sp_ip_CI_sbrr_dirReg
    .private_segment_fixed_size: 0
    .sgpr_count:     25
    .sgpr_spill_count: 0
    .symbol:         fft_rtc_back_len50_factors_10_5_wgs_250_tpt_10_halfLds_sp_ip_CI_sbrr_dirReg.kd
    .uniform_work_group_size: 1
    .uses_dynamic_stack: false
    .vgpr_count:     46
    .vgpr_spill_count: 0
    .wavefront_size: 32
    .workgroup_processor_mode: 1
amdhsa.target:   amdgcn-amd-amdhsa--gfx1030
amdhsa.version:
  - 1
  - 2
...

	.end_amdgpu_metadata
